;; amdgpu-corpus repo=ROCm/rocFFT kind=compiled arch=gfx1030 opt=O3
	.text
	.amdgcn_target "amdgcn-amd-amdhsa--gfx1030"
	.amdhsa_code_object_version 6
	.protected	fft_rtc_back_len1408_factors_2_2_2_2_2_2_11_2_wgs_176_tpt_176_halfLds_half_ip_CI_sbrr_dirReg ; -- Begin function fft_rtc_back_len1408_factors_2_2_2_2_2_2_11_2_wgs_176_tpt_176_halfLds_half_ip_CI_sbrr_dirReg
	.globl	fft_rtc_back_len1408_factors_2_2_2_2_2_2_11_2_wgs_176_tpt_176_halfLds_half_ip_CI_sbrr_dirReg
	.p2align	8
	.type	fft_rtc_back_len1408_factors_2_2_2_2_2_2_11_2_wgs_176_tpt_176_halfLds_half_ip_CI_sbrr_dirReg,@function
fft_rtc_back_len1408_factors_2_2_2_2_2_2_11_2_wgs_176_tpt_176_halfLds_half_ip_CI_sbrr_dirReg: ; @fft_rtc_back_len1408_factors_2_2_2_2_2_2_11_2_wgs_176_tpt_176_halfLds_half_ip_CI_sbrr_dirReg
; %bb.0:
	s_clause 0x2
	s_load_dwordx2 s[14:15], s[4:5], 0x18
	s_load_dwordx4 s[8:11], s[4:5], 0x0
	s_load_dwordx2 s[12:13], s[4:5], 0x50
	v_mul_u32_u24_e32 v1, 0x175, v0
	v_mov_b32_e32 v3, 0
	v_add_nc_u32_sdwa v5, s6, v1 dst_sel:DWORD dst_unused:UNUSED_PAD src0_sel:DWORD src1_sel:WORD_1
	v_mov_b32_e32 v1, 0
	v_mov_b32_e32 v6, v3
	v_mov_b32_e32 v2, 0
	s_waitcnt lgkmcnt(0)
	s_load_dwordx2 s[2:3], s[14:15], 0x0
	v_cmp_lt_u64_e64 s0, s[10:11], 2
	s_and_b32 vcc_lo, exec_lo, s0
	s_cbranch_vccnz .LBB0_8
; %bb.1:
	s_load_dwordx2 s[0:1], s[4:5], 0x10
	v_mov_b32_e32 v1, 0
	s_add_u32 s6, s14, 8
	v_mov_b32_e32 v2, 0
	s_addc_u32 s7, s15, 0
	s_mov_b64 s[18:19], 1
	s_waitcnt lgkmcnt(0)
	s_add_u32 s16, s0, 8
	s_addc_u32 s17, s1, 0
.LBB0_2:                                ; =>This Inner Loop Header: Depth=1
	s_load_dwordx2 s[20:21], s[16:17], 0x0
                                        ; implicit-def: $vgpr7_vgpr8
	s_mov_b32 s0, exec_lo
	s_waitcnt lgkmcnt(0)
	v_or_b32_e32 v4, s21, v6
	v_cmpx_ne_u64_e32 0, v[3:4]
	s_xor_b32 s1, exec_lo, s0
	s_cbranch_execz .LBB0_4
; %bb.3:                                ;   in Loop: Header=BB0_2 Depth=1
	v_cvt_f32_u32_e32 v4, s20
	v_cvt_f32_u32_e32 v7, s21
	s_sub_u32 s0, 0, s20
	s_subb_u32 s22, 0, s21
	v_fmac_f32_e32 v4, 0x4f800000, v7
	v_rcp_f32_e32 v4, v4
	v_mul_f32_e32 v4, 0x5f7ffffc, v4
	v_mul_f32_e32 v7, 0x2f800000, v4
	v_trunc_f32_e32 v7, v7
	v_fmac_f32_e32 v4, 0xcf800000, v7
	v_cvt_u32_f32_e32 v7, v7
	v_cvt_u32_f32_e32 v4, v4
	v_mul_lo_u32 v8, s0, v7
	v_mul_hi_u32 v9, s0, v4
	v_mul_lo_u32 v10, s22, v4
	v_add_nc_u32_e32 v8, v9, v8
	v_mul_lo_u32 v9, s0, v4
	v_add_nc_u32_e32 v8, v8, v10
	v_mul_hi_u32 v10, v4, v9
	v_mul_lo_u32 v11, v4, v8
	v_mul_hi_u32 v12, v4, v8
	v_mul_hi_u32 v13, v7, v9
	v_mul_lo_u32 v9, v7, v9
	v_mul_hi_u32 v14, v7, v8
	v_mul_lo_u32 v8, v7, v8
	v_add_co_u32 v10, vcc_lo, v10, v11
	v_add_co_ci_u32_e32 v11, vcc_lo, 0, v12, vcc_lo
	v_add_co_u32 v9, vcc_lo, v10, v9
	v_add_co_ci_u32_e32 v9, vcc_lo, v11, v13, vcc_lo
	v_add_co_ci_u32_e32 v10, vcc_lo, 0, v14, vcc_lo
	v_add_co_u32 v8, vcc_lo, v9, v8
	v_add_co_ci_u32_e32 v9, vcc_lo, 0, v10, vcc_lo
	v_add_co_u32 v4, vcc_lo, v4, v8
	v_add_co_ci_u32_e32 v7, vcc_lo, v7, v9, vcc_lo
	v_mul_hi_u32 v8, s0, v4
	v_mul_lo_u32 v10, s22, v4
	v_mul_lo_u32 v9, s0, v7
	v_add_nc_u32_e32 v8, v8, v9
	v_mul_lo_u32 v9, s0, v4
	v_add_nc_u32_e32 v8, v8, v10
	v_mul_hi_u32 v10, v4, v9
	v_mul_lo_u32 v11, v4, v8
	v_mul_hi_u32 v12, v4, v8
	v_mul_hi_u32 v13, v7, v9
	v_mul_lo_u32 v9, v7, v9
	v_mul_hi_u32 v14, v7, v8
	v_mul_lo_u32 v8, v7, v8
	v_add_co_u32 v10, vcc_lo, v10, v11
	v_add_co_ci_u32_e32 v11, vcc_lo, 0, v12, vcc_lo
	v_add_co_u32 v9, vcc_lo, v10, v9
	v_add_co_ci_u32_e32 v9, vcc_lo, v11, v13, vcc_lo
	v_add_co_ci_u32_e32 v10, vcc_lo, 0, v14, vcc_lo
	v_add_co_u32 v8, vcc_lo, v9, v8
	v_add_co_ci_u32_e32 v9, vcc_lo, 0, v10, vcc_lo
	v_add_co_u32 v4, vcc_lo, v4, v8
	v_add_co_ci_u32_e32 v11, vcc_lo, v7, v9, vcc_lo
	v_mul_hi_u32 v13, v5, v4
	v_mad_u64_u32 v[9:10], null, v6, v4, 0
	v_mad_u64_u32 v[7:8], null, v5, v11, 0
	;; [unrolled: 1-line block ×3, first 2 shown]
	v_add_co_u32 v4, vcc_lo, v13, v7
	v_add_co_ci_u32_e32 v7, vcc_lo, 0, v8, vcc_lo
	v_add_co_u32 v4, vcc_lo, v4, v9
	v_add_co_ci_u32_e32 v4, vcc_lo, v7, v10, vcc_lo
	v_add_co_ci_u32_e32 v7, vcc_lo, 0, v12, vcc_lo
	v_add_co_u32 v4, vcc_lo, v4, v11
	v_add_co_ci_u32_e32 v9, vcc_lo, 0, v7, vcc_lo
	v_mul_lo_u32 v10, s21, v4
	v_mad_u64_u32 v[7:8], null, s20, v4, 0
	v_mul_lo_u32 v11, s20, v9
	v_sub_co_u32 v7, vcc_lo, v5, v7
	v_add3_u32 v8, v8, v11, v10
	v_sub_nc_u32_e32 v10, v6, v8
	v_subrev_co_ci_u32_e64 v10, s0, s21, v10, vcc_lo
	v_add_co_u32 v11, s0, v4, 2
	v_add_co_ci_u32_e64 v12, s0, 0, v9, s0
	v_sub_co_u32 v13, s0, v7, s20
	v_sub_co_ci_u32_e32 v8, vcc_lo, v6, v8, vcc_lo
	v_subrev_co_ci_u32_e64 v10, s0, 0, v10, s0
	v_cmp_le_u32_e32 vcc_lo, s20, v13
	v_cmp_eq_u32_e64 s0, s21, v8
	v_cndmask_b32_e64 v13, 0, -1, vcc_lo
	v_cmp_le_u32_e32 vcc_lo, s21, v10
	v_cndmask_b32_e64 v14, 0, -1, vcc_lo
	v_cmp_le_u32_e32 vcc_lo, s20, v7
	;; [unrolled: 2-line block ×3, first 2 shown]
	v_cndmask_b32_e64 v15, 0, -1, vcc_lo
	v_cmp_eq_u32_e32 vcc_lo, s21, v10
	v_cndmask_b32_e64 v7, v15, v7, s0
	v_cndmask_b32_e32 v10, v14, v13, vcc_lo
	v_add_co_u32 v13, vcc_lo, v4, 1
	v_add_co_ci_u32_e32 v14, vcc_lo, 0, v9, vcc_lo
	v_cmp_ne_u32_e32 vcc_lo, 0, v10
	v_cndmask_b32_e32 v8, v14, v12, vcc_lo
	v_cndmask_b32_e32 v10, v13, v11, vcc_lo
	v_cmp_ne_u32_e32 vcc_lo, 0, v7
	v_cndmask_b32_e32 v8, v9, v8, vcc_lo
	v_cndmask_b32_e32 v7, v4, v10, vcc_lo
.LBB0_4:                                ;   in Loop: Header=BB0_2 Depth=1
	s_andn2_saveexec_b32 s0, s1
	s_cbranch_execz .LBB0_6
; %bb.5:                                ;   in Loop: Header=BB0_2 Depth=1
	v_cvt_f32_u32_e32 v4, s20
	s_sub_i32 s1, 0, s20
	v_rcp_iflag_f32_e32 v4, v4
	v_mul_f32_e32 v4, 0x4f7ffffe, v4
	v_cvt_u32_f32_e32 v4, v4
	v_mul_lo_u32 v7, s1, v4
	v_mul_hi_u32 v7, v4, v7
	v_add_nc_u32_e32 v4, v4, v7
	v_mul_hi_u32 v4, v5, v4
	v_mul_lo_u32 v7, v4, s20
	v_add_nc_u32_e32 v8, 1, v4
	v_sub_nc_u32_e32 v7, v5, v7
	v_subrev_nc_u32_e32 v9, s20, v7
	v_cmp_le_u32_e32 vcc_lo, s20, v7
	v_cndmask_b32_e32 v7, v7, v9, vcc_lo
	v_cndmask_b32_e32 v4, v4, v8, vcc_lo
	v_cmp_le_u32_e32 vcc_lo, s20, v7
	v_add_nc_u32_e32 v8, 1, v4
	v_cndmask_b32_e32 v7, v4, v8, vcc_lo
	v_mov_b32_e32 v8, v3
.LBB0_6:                                ;   in Loop: Header=BB0_2 Depth=1
	s_or_b32 exec_lo, exec_lo, s0
	s_load_dwordx2 s[0:1], s[6:7], 0x0
	v_mul_lo_u32 v4, v8, s20
	v_mul_lo_u32 v11, v7, s21
	v_mad_u64_u32 v[9:10], null, v7, s20, 0
	s_add_u32 s18, s18, 1
	s_addc_u32 s19, s19, 0
	s_add_u32 s6, s6, 8
	s_addc_u32 s7, s7, 0
	;; [unrolled: 2-line block ×3, first 2 shown]
	v_add3_u32 v4, v10, v11, v4
	v_sub_co_u32 v5, vcc_lo, v5, v9
	v_sub_co_ci_u32_e32 v4, vcc_lo, v6, v4, vcc_lo
	s_waitcnt lgkmcnt(0)
	v_mul_lo_u32 v6, s1, v5
	v_mul_lo_u32 v4, s0, v4
	v_mad_u64_u32 v[1:2], null, s0, v5, v[1:2]
	v_cmp_ge_u64_e64 s0, s[18:19], s[10:11]
	s_and_b32 vcc_lo, exec_lo, s0
	v_add3_u32 v2, v6, v2, v4
	s_cbranch_vccnz .LBB0_9
; %bb.7:                                ;   in Loop: Header=BB0_2 Depth=1
	v_mov_b32_e32 v5, v7
	v_mov_b32_e32 v6, v8
	s_branch .LBB0_2
.LBB0_8:
	v_mov_b32_e32 v8, v6
	v_mov_b32_e32 v7, v5
.LBB0_9:
	s_lshl_b64 s[0:1], s[10:11], 3
	v_mul_hi_u32 v3, 0x1745d18, v0
	s_add_u32 s0, s14, s0
	s_addc_u32 s1, s15, s1
	s_load_dwordx2 s[4:5], s[4:5], 0x20
	s_load_dwordx2 s[0:1], s[0:1], 0x0
                                        ; implicit-def: $vgpr6
	v_mul_u32_u24_e32 v3, 0xb0, v3
	v_sub_nc_u32_e32 v0, v0, v3
	v_add_nc_u32_e32 v10, 0xb0, v0
	v_add_nc_u32_e32 v11, 0x160, v0
	;; [unrolled: 1-line block ×3, first 2 shown]
	s_waitcnt lgkmcnt(0)
	v_cmp_gt_u64_e32 vcc_lo, s[4:5], v[7:8]
	v_mul_lo_u32 v3, s0, v8
	v_mul_lo_u32 v4, s1, v7
	v_mad_u64_u32 v[1:2], null, s0, v7, v[1:2]
	v_cmp_le_u64_e64 s0, s[4:5], v[7:8]
                                        ; implicit-def: $sgpr4
                                        ; implicit-def: $vgpr8
	v_add3_u32 v2, v4, v2, v3
                                        ; implicit-def: $vgpr4
	s_and_saveexec_b32 s1, s0
	s_xor_b32 s0, exec_lo, s1
; %bb.10:
	v_add_nc_u32_e32 v4, 0xb0, v0
	v_add_nc_u32_e32 v6, 0x160, v0
	;; [unrolled: 1-line block ×3, first 2 shown]
	s_mov_b32 s4, 0
; %bb.11:
	s_or_saveexec_b32 s1, s0
	v_lshlrev_b64 v[2:3], 2, v[1:2]
	v_mov_b32_e32 v5, s4
	v_add_nc_u32_e32 v14, 0x2c0, v0
	v_add_nc_u32_e32 v13, 0x370, v0
	v_mov_b32_e32 v17, s4
	v_mov_b32_e32 v9, s4
	;; [unrolled: 1-line block ×3, first 2 shown]
                                        ; implicit-def: $vgpr21
                                        ; implicit-def: $vgpr1
                                        ; implicit-def: $vgpr22
                                        ; implicit-def: $vgpr15
                                        ; implicit-def: $vgpr19
                                        ; implicit-def: $vgpr18
                                        ; implicit-def: $vgpr20
                                        ; implicit-def: $vgpr16
	s_xor_b32 exec_lo, exec_lo, s1
	s_cbranch_execz .LBB0_13
; %bb.12:
	v_mad_u64_u32 v[4:5], null, s2, v0, 0
	v_mad_u64_u32 v[6:7], null, s2, v14, 0
	;; [unrolled: 1-line block ×4, first 2 shown]
	v_mov_b32_e32 v1, v5
	v_add_co_u32 v28, s0, s12, v2
	v_add_co_ci_u32_e64 v29, s0, s13, v3, s0
	v_mad_u64_u32 v[8:9], null, s3, v0, v[1:2]
	v_mov_b32_e32 v1, v7
	v_add_nc_u32_e32 v25, 0x420, v0
	v_add_nc_u32_e32 v27, 0x4d0, v0
	v_mad_u64_u32 v[23:24], null, s2, v12, 0
	v_mad_u64_u32 v[19:20], null, s3, v14, v[1:2]
	v_mov_b32_e32 v5, v8
	v_mov_b32_e32 v1, v16
	;; [unrolled: 1-line block ×3, first 2 shown]
	v_mad_u64_u32 v[21:22], null, s2, v27, 0
	v_lshlrev_b64 v[4:5], 2, v[4:5]
	v_mov_b32_e32 v7, v19
	v_mad_u64_u32 v[18:19], null, s3, v10, v[1:2]
	v_mad_u64_u32 v[8:9], null, s3, v13, v[8:9]
	v_lshlrev_b64 v[6:7], 2, v[6:7]
	v_add_co_u32 v4, s0, v28, v4
	v_add_co_ci_u32_e64 v5, s0, v29, v5, s0
	v_mad_u64_u32 v[19:20], null, s2, v11, 0
	v_add_co_u32 v6, s0, v28, v6
	v_add_co_ci_u32_e64 v7, s0, v29, v7, s0
	v_mov_b32_e32 v16, v18
	v_mov_b32_e32 v18, v8
	v_mad_u64_u32 v[8:9], null, s2, v25, 0
	global_load_dword v1, v[6:7], off
	v_lshlrev_b64 v[6:7], 2, v[15:16]
	v_lshlrev_b64 v[15:16], 2, v[17:18]
	v_mov_b32_e32 v17, v20
	v_mad_u64_u32 v[25:26], null, s3, v25, v[9:10]
	v_mad_u64_u32 v[17:18], null, s3, v11, v[17:18]
	v_mov_b32_e32 v9, v22
	v_add_co_u32 v15, s0, v28, v15
	v_add_co_ci_u32_e64 v16, s0, v29, v16, s0
	v_mad_u64_u32 v[26:27], null, s3, v27, v[9:10]
	v_mov_b32_e32 v20, v17
	v_mov_b32_e32 v17, v24
	;; [unrolled: 1-line block ×3, first 2 shown]
	v_add_co_u32 v6, s0, v28, v6
	global_load_dword v15, v[15:16], off
	v_mad_u64_u32 v[17:18], null, s3, v12, v[17:18]
	v_mov_b32_e32 v22, v26
	v_lshlrev_b64 v[8:9], 2, v[8:9]
	v_add_co_ci_u32_e64 v7, s0, v29, v7, s0
	v_lshlrev_b64 v[18:19], 2, v[19:20]
	v_mov_b32_e32 v24, v17
	v_lshlrev_b64 v[16:17], 2, v[21:22]
	v_add_co_u32 v8, s0, v28, v8
	v_add_co_ci_u32_e64 v9, s0, v29, v9, s0
	v_lshlrev_b64 v[20:21], 2, v[23:24]
	v_add_co_u32 v16, s0, v28, v16
	v_add_co_ci_u32_e64 v17, s0, v29, v17, s0
	v_add_co_u32 v22, s0, v28, v18
	v_add_co_ci_u32_e64 v23, s0, v29, v19, s0
	v_add_co_u32 v19, s0, v28, v20
	s_clause 0x1
	global_load_dword v18, v[8:9], off
	global_load_dword v16, v[16:17], off
	v_add_co_ci_u32_e64 v20, s0, v29, v21, s0
	s_clause 0x3
	global_load_dword v5, v[4:5], off
	global_load_dword v17, v[6:7], off
	;; [unrolled: 1-line block ×4, first 2 shown]
	v_mov_b32_e32 v8, v12
	v_mov_b32_e32 v6, v11
	;; [unrolled: 1-line block ×3, first 2 shown]
	s_waitcnt vmcnt(7)
	v_lshrrev_b32_e32 v21, 16, v1
	s_waitcnt vmcnt(6)
	v_lshrrev_b32_e32 v22, 16, v15
	s_waitcnt vmcnt(5)
	v_lshrrev_b32_e32 v19, 16, v18
	s_waitcnt vmcnt(4)
	v_lshrrev_b32_e32 v20, 16, v16
.LBB0_13:
	s_or_b32 exec_lo, exec_lo, s1
	s_waitcnt vmcnt(3)
	v_lshrrev_b32_e32 v23, 16, v5
	v_sub_f16_e32 v1, v5, v1
	s_waitcnt vmcnt(2)
	v_lshrrev_b32_e32 v24, 16, v17
	v_sub_f16_e32 v15, v17, v15
	;; [unrolled: 3-line block ×3, first 2 shown]
	v_sub_f16_e32 v21, v9, v18
	s_waitcnt vmcnt(0)
	v_lshrrev_b32_e32 v18, 16, v7
	v_sub_f16_e32 v27, v24, v22
	v_fma_f16 v5, v5, 2.0, -v1
	v_fma_f16 v22, v17, 2.0, -v15
	v_sub_f16_e32 v28, v25, v19
	v_fma_f16 v19, v9, 2.0, -v21
	v_sub_f16_e32 v16, v7, v16
	v_sub_f16_e32 v29, v18, v20
	v_lshl_add_u32 v17, v0, 2, 0
	v_pack_b32_f16 v1, v5, v1
	v_lshl_add_u32 v5, v4, 2, 0
	v_pack_b32_f16 v15, v22, v15
	v_fma_f16 v23, v23, 2.0, -v26
	v_fma_f16 v20, v7, 2.0, -v16
	;; [unrolled: 1-line block ×3, first 2 shown]
	v_lshlrev_b32_e32 v18, 1, v0
	v_lshl_add_u32 v7, v6, 2, 0
	v_pack_b32_f16 v19, v19, v21
	v_fma_f16 v24, v24, 2.0, -v27
	v_fma_f16 v25, v25, 2.0, -v28
	ds_write_b32 v17, v1
	ds_write_b32 v5, v15
	v_lshlrev_b32_e32 v15, 1, v6
	v_lshlrev_b32_e32 v9, 1, v4
	v_lshl_add_u32 v1, v8, 2, 0
	v_pack_b32_f16 v20, v20, v16
	ds_write_b32 v7, v19
	v_lshlrev_b32_e32 v16, 1, v8
	v_sub_nc_u32_e32 v19, v17, v18
	v_pack_b32_f16 v23, v23, v26
	v_and_b32_e32 v26, 1, v0
	v_pack_b32_f16 v24, v24, v27
	v_pack_b32_f16 v25, v25, v28
	v_sub_nc_u32_e32 v21, v7, v15
	ds_write_b32 v1, v20
	s_waitcnt lgkmcnt(0)
	s_barrier
	buffer_gl0_inv
	v_sub_nc_u32_e32 v20, v5, v9
	v_sub_nc_u32_e32 v22, v1, v16
	ds_read_u16 v31, v19
	ds_read_u16 v32, v19 offset:1408
	ds_read_u16 v33, v19 offset:1760
	;; [unrolled: 1-line block ×3, first 2 shown]
	ds_read_u16 v35, v21
	ds_read_u16 v36, v22
	;; [unrolled: 1-line block ×3, first 2 shown]
	ds_read_u16 v38, v19 offset:2464
	s_waitcnt lgkmcnt(0)
	s_barrier
	buffer_gl0_inv
	v_pack_b32_f16 v27, v30, v29
	ds_write_b32 v17, v23
	ds_write_b32 v5, v24
	;; [unrolled: 1-line block ×3, first 2 shown]
	v_lshlrev_b32_e32 v23, 2, v26
	v_and_b32_e32 v41, 3, v0
	v_and_or_b32 v42, 0x1fc, v18, v26
	ds_write_b32 v1, v27
	s_waitcnt lgkmcnt(0)
	s_barrier
	buffer_gl0_inv
	global_load_dword v23, v23, s[8:9]
	ds_read_u16 v24, v19
	ds_read_u16 v25, v19 offset:1408
	ds_read_u16 v27, v19 offset:1760
	;; [unrolled: 1-line block ×3, first 2 shown]
	ds_read_u16 v29, v21
	ds_read_u16 v30, v22
	ds_read_u16 v39, v20
	ds_read_u16 v40, v19 offset:2464
	v_and_or_b32 v43, 0x3fc, v9, v26
	v_and_or_b32 v44, 0x7fc, v15, v26
	;; [unrolled: 1-line block ×3, first 2 shown]
	v_lshlrev_b32_e32 v45, 2, v41
	v_lshl_add_u32 v42, v42, 1, 0
	v_lshl_add_u32 v43, v43, 1, 0
	;; [unrolled: 1-line block ×4, first 2 shown]
	s_waitcnt vmcnt(0) lgkmcnt(0)
	s_barrier
	buffer_gl0_inv
	v_cmp_gt_u32_e64 s0, 0x80, v0
	v_mul_f16_sdwa v47, v32, v23 dst_sel:DWORD dst_unused:UNUSED_PAD src0_sel:DWORD src1_sel:WORD_1
	v_mul_f16_sdwa v46, v25, v23 dst_sel:DWORD dst_unused:UNUSED_PAD src0_sel:DWORD src1_sel:WORD_1
	;; [unrolled: 1-line block ×8, first 2 shown]
	v_fma_f16 v25, v25, v23, -v47
	v_fmac_f16_e32 v46, v32, v23
	v_fmac_f16_e32 v48, v33, v23
	v_fma_f16 v27, v27, v23, -v49
	v_fmac_f16_e32 v50, v34, v23
	v_fma_f16 v28, v28, v23, -v51
	;; [unrolled: 2-line block ×3, first 2 shown]
	v_sub_f16_e32 v25, v24, v25
	v_sub_f16_e32 v32, v31, v46
	;; [unrolled: 1-line block ×8, first 2 shown]
	v_fma_f16 v24, v24, 2.0, -v25
	v_fma_f16 v31, v31, 2.0, -v32
	;; [unrolled: 1-line block ×8, first 2 shown]
	ds_write_b16 v42, v32 offset:4
	ds_write_b16 v42, v31
	ds_write_b16 v43, v37
	ds_write_b16 v43, v33 offset:4
	ds_write_b16 v44, v35
	ds_write_b16 v44, v34 offset:4
	;; [unrolled: 2-line block ×3, first 2 shown]
	s_waitcnt lgkmcnt(0)
	s_barrier
	buffer_gl0_inv
	ds_read_u16 v31, v19
	ds_read_u16 v32, v19 offset:1408
	ds_read_u16 v33, v19 offset:1760
	;; [unrolled: 1-line block ×3, first 2 shown]
	ds_read_u16 v35, v21
	ds_read_u16 v36, v22
	ds_read_u16 v37, v20
	ds_read_u16 v38, v19 offset:2464
	s_waitcnt lgkmcnt(0)
	s_barrier
	buffer_gl0_inv
	ds_write_b16 v42, v24
	ds_write_b16 v42, v25 offset:4
	ds_write_b16 v43, v39
	ds_write_b16 v43, v27 offset:4
	;; [unrolled: 2-line block ×4, first 2 shown]
	s_waitcnt lgkmcnt(0)
	s_barrier
	buffer_gl0_inv
	global_load_dword v23, v45, s[8:9] offset:8
	ds_read_u16 v24, v19
	ds_read_u16 v25, v19 offset:1408
	ds_read_u16 v26, v19 offset:1760
	;; [unrolled: 1-line block ×3, first 2 shown]
	ds_read_u16 v28, v21
	ds_read_u16 v29, v22
	;; [unrolled: 1-line block ×3, first 2 shown]
	ds_read_u16 v39, v19 offset:2464
	v_and_b32_e32 v40, 7, v0
	v_and_or_b32 v42, 0x1f8, v18, v41
	v_and_or_b32 v43, 0x3f8, v9, v41
	;; [unrolled: 1-line block ×4, first 2 shown]
	v_lshlrev_b32_e32 v45, 2, v40
	v_lshl_add_u32 v42, v42, 1, 0
	v_lshl_add_u32 v43, v43, 1, 0
	;; [unrolled: 1-line block ×4, first 2 shown]
	s_waitcnt vmcnt(0) lgkmcnt(0)
	s_barrier
	buffer_gl0_inv
	v_mul_f16_sdwa v47, v32, v23 dst_sel:DWORD dst_unused:UNUSED_PAD src0_sel:DWORD src1_sel:WORD_1
	v_mul_f16_sdwa v46, v25, v23 dst_sel:DWORD dst_unused:UNUSED_PAD src0_sel:DWORD src1_sel:WORD_1
	v_mul_f16_sdwa v48, v26, v23 dst_sel:DWORD dst_unused:UNUSED_PAD src0_sel:DWORD src1_sel:WORD_1
	v_mul_f16_sdwa v49, v33, v23 dst_sel:DWORD dst_unused:UNUSED_PAD src0_sel:DWORD src1_sel:WORD_1
	v_mul_f16_sdwa v50, v27, v23 dst_sel:DWORD dst_unused:UNUSED_PAD src0_sel:DWORD src1_sel:WORD_1
	v_mul_f16_sdwa v51, v34, v23 dst_sel:DWORD dst_unused:UNUSED_PAD src0_sel:DWORD src1_sel:WORD_1
	v_mul_f16_sdwa v52, v39, v23 dst_sel:DWORD dst_unused:UNUSED_PAD src0_sel:DWORD src1_sel:WORD_1
	v_mul_f16_sdwa v53, v38, v23 dst_sel:DWORD dst_unused:UNUSED_PAD src0_sel:DWORD src1_sel:WORD_1
	v_fma_f16 v25, v25, v23, -v47
	v_fmac_f16_e32 v46, v32, v23
	v_fmac_f16_e32 v48, v33, v23
	v_fma_f16 v26, v26, v23, -v49
	v_fmac_f16_e32 v50, v34, v23
	v_fma_f16 v27, v27, v23, -v51
	;; [unrolled: 2-line block ×3, first 2 shown]
	v_sub_f16_e32 v25, v24, v25
	v_sub_f16_e32 v32, v31, v46
	;; [unrolled: 1-line block ×8, first 2 shown]
	v_fma_f16 v24, v24, 2.0, -v25
	v_fma_f16 v31, v31, 2.0, -v32
	;; [unrolled: 1-line block ×8, first 2 shown]
	ds_write_b16 v42, v32 offset:8
	ds_write_b16 v42, v31
	ds_write_b16 v43, v37
	ds_write_b16 v43, v33 offset:8
	ds_write_b16 v44, v35
	ds_write_b16 v44, v34 offset:8
	;; [unrolled: 2-line block ×3, first 2 shown]
	s_waitcnt lgkmcnt(0)
	s_barrier
	buffer_gl0_inv
	ds_read_u16 v31, v19
	ds_read_u16 v32, v19 offset:1408
	ds_read_u16 v33, v19 offset:1760
	;; [unrolled: 1-line block ×3, first 2 shown]
	ds_read_u16 v35, v21
	ds_read_u16 v36, v22
	;; [unrolled: 1-line block ×3, first 2 shown]
	ds_read_u16 v38, v19 offset:2464
	s_waitcnt lgkmcnt(0)
	s_barrier
	buffer_gl0_inv
	ds_write_b16 v42, v24
	ds_write_b16 v42, v25 offset:8
	ds_write_b16 v43, v30
	ds_write_b16 v43, v26 offset:8
	;; [unrolled: 2-line block ×4, first 2 shown]
	s_waitcnt lgkmcnt(0)
	s_barrier
	buffer_gl0_inv
	global_load_dword v23, v45, s[8:9] offset:24
	ds_read_u16 v24, v19
	ds_read_u16 v25, v19 offset:1408
	ds_read_u16 v26, v19 offset:1760
	;; [unrolled: 1-line block ×3, first 2 shown]
	ds_read_u16 v28, v21
	ds_read_u16 v29, v22
	ds_read_u16 v30, v20
	ds_read_u16 v39, v19 offset:2464
	v_and_b32_e32 v41, 15, v0
	v_and_or_b32 v42, 0x1f0, v18, v40
	v_and_or_b32 v43, 0x3f0, v9, v40
	;; [unrolled: 1-line block ×4, first 2 shown]
	v_lshlrev_b32_e32 v45, 2, v41
	v_lshl_add_u32 v42, v42, 1, 0
	v_lshl_add_u32 v43, v43, 1, 0
	;; [unrolled: 1-line block ×4, first 2 shown]
	s_waitcnt vmcnt(0) lgkmcnt(0)
	s_barrier
	buffer_gl0_inv
	v_mul_f16_sdwa v47, v32, v23 dst_sel:DWORD dst_unused:UNUSED_PAD src0_sel:DWORD src1_sel:WORD_1
	v_mul_f16_sdwa v46, v25, v23 dst_sel:DWORD dst_unused:UNUSED_PAD src0_sel:DWORD src1_sel:WORD_1
	;; [unrolled: 1-line block ×8, first 2 shown]
	v_fma_f16 v25, v25, v23, -v47
	v_fmac_f16_e32 v46, v32, v23
	v_fmac_f16_e32 v48, v33, v23
	v_fma_f16 v26, v26, v23, -v49
	v_fmac_f16_e32 v50, v34, v23
	v_fma_f16 v27, v27, v23, -v51
	;; [unrolled: 2-line block ×3, first 2 shown]
	v_sub_f16_e32 v25, v24, v25
	v_sub_f16_e32 v32, v31, v46
	;; [unrolled: 1-line block ×8, first 2 shown]
	v_fma_f16 v24, v24, 2.0, -v25
	v_fma_f16 v31, v31, 2.0, -v32
	;; [unrolled: 1-line block ×8, first 2 shown]
	ds_write_b16 v42, v32 offset:16
	ds_write_b16 v42, v31
	ds_write_b16 v43, v37
	ds_write_b16 v43, v33 offset:16
	ds_write_b16 v44, v35
	ds_write_b16 v44, v34 offset:16
	;; [unrolled: 2-line block ×3, first 2 shown]
	s_waitcnt lgkmcnt(0)
	s_barrier
	buffer_gl0_inv
	ds_read_u16 v31, v19
	ds_read_u16 v32, v19 offset:1408
	ds_read_u16 v33, v19 offset:1760
	;; [unrolled: 1-line block ×3, first 2 shown]
	ds_read_u16 v35, v21
	ds_read_u16 v36, v22
	;; [unrolled: 1-line block ×3, first 2 shown]
	ds_read_u16 v38, v19 offset:2464
	s_waitcnt lgkmcnt(0)
	s_barrier
	buffer_gl0_inv
	ds_write_b16 v42, v24
	ds_write_b16 v42, v25 offset:16
	ds_write_b16 v43, v30
	ds_write_b16 v43, v26 offset:16
	;; [unrolled: 2-line block ×4, first 2 shown]
	s_waitcnt lgkmcnt(0)
	s_barrier
	buffer_gl0_inv
	global_load_dword v23, v45, s[8:9] offset:56
	ds_read_u16 v25, v19
	ds_read_u16 v26, v19 offset:1408
	ds_read_u16 v30, v19 offset:1760
	ds_read_u16 v39, v19 offset:2112
	ds_read_u16 v40, v21
	ds_read_u16 v42, v22
	;; [unrolled: 1-line block ×3, first 2 shown]
	ds_read_u16 v44, v19 offset:2464
	v_and_or_b32 v24, 0x1e0, v18, v41
	v_and_b32_e32 v27, 31, v0
	v_and_b32_e32 v28, 31, v4
	;; [unrolled: 1-line block ×3, first 2 shown]
	v_and_or_b32 v45, 0x3e0, v9, v41
	v_lshl_add_u32 v50, v24, 1, 0
	v_and_or_b32 v46, 0x7e0, v15, v41
	v_and_or_b32 v41, 0x7e0, v16, v41
	v_lshlrev_b32_e32 v47, 2, v27
	v_lshlrev_b32_e32 v48, 2, v28
	;; [unrolled: 1-line block ×3, first 2 shown]
	v_lshl_add_u32 v45, v45, 1, 0
	v_lshl_add_u32 v46, v46, 1, 0
	;; [unrolled: 1-line block ×3, first 2 shown]
	s_waitcnt vmcnt(0) lgkmcnt(0)
	s_barrier
	buffer_gl0_inv
	v_mul_f16_sdwa v51, v32, v23 dst_sel:DWORD dst_unused:UNUSED_PAD src0_sel:DWORD src1_sel:WORD_1
	v_mul_f16_sdwa v24, v26, v23 dst_sel:DWORD dst_unused:UNUSED_PAD src0_sel:DWORD src1_sel:WORD_1
	;; [unrolled: 1-line block ×8, first 2 shown]
	v_fma_f16 v26, v26, v23, -v51
	v_fmac_f16_e32 v24, v32, v23
	v_fmac_f16_e32 v52, v33, v23
	v_fma_f16 v30, v30, v23, -v53
	v_fmac_f16_e32 v54, v34, v23
	v_fma_f16 v32, v39, v23, -v55
	;; [unrolled: 2-line block ×3, first 2 shown]
	v_sub_f16_e32 v33, v25, v26
	v_sub_f16_e32 v24, v31, v24
	;; [unrolled: 1-line block ×8, first 2 shown]
	v_fma_f16 v25, v25, 2.0, -v33
	v_fma_f16 v31, v31, 2.0, -v24
	;; [unrolled: 1-line block ×8, first 2 shown]
	ds_write_b16 v50, v24 offset:32
	ds_write_b16 v50, v31
	ds_write_b16 v45, v37
	ds_write_b16 v45, v26 offset:32
	ds_write_b16 v46, v35
	ds_write_b16 v46, v30 offset:32
	;; [unrolled: 2-line block ×3, first 2 shown]
	s_waitcnt lgkmcnt(0)
	s_barrier
	buffer_gl0_inv
	ds_read_u16 v37, v19
	ds_read_u16 v30, v19 offset:1408
	ds_read_u16 v26, v19 offset:1760
	;; [unrolled: 1-line block ×3, first 2 shown]
	ds_read_u16 v38, v21
	ds_read_u16 v51, v22
	;; [unrolled: 1-line block ×3, first 2 shown]
	ds_read_u16 v31, v19 offset:2464
	s_waitcnt lgkmcnt(0)
	s_barrier
	buffer_gl0_inv
	ds_write_b16 v50, v25
	ds_write_b16 v50, v33 offset:32
	ds_write_b16 v45, v39
	ds_write_b16 v45, v34 offset:32
	ds_write_b16 v46, v40
	ds_write_b16 v46, v32 offset:32
	ds_write_b16 v41, v42
	ds_write_b16 v41, v23 offset:32
	s_waitcnt lgkmcnt(0)
	s_barrier
	buffer_gl0_inv
	s_clause 0x2
	global_load_dword v35, v47, s[8:9] offset:120
	global_load_dword v41, v48, s[8:9] offset:120
	;; [unrolled: 1-line block ×3, first 2 shown]
	ds_read_u16 v42, v19 offset:1408
	ds_read_u16 v43, v19 offset:1760
	;; [unrolled: 1-line block ×3, first 2 shown]
	ds_read_u16 v21, v21
	ds_read_u16 v25, v22
	ds_read_u16 v45, v19 offset:2464
	ds_read_u16 v34, v20
	ds_read_u16 v40, v19
	v_and_or_b32 v19, 0x1c0, v18, v27
	v_and_or_b32 v22, 0x3c0, v9, v28
	;; [unrolled: 1-line block ×4, first 2 shown]
	v_sub_nc_u32_e32 v28, 0, v18
	v_lshl_add_u32 v48, v19, 1, 0
	v_lshl_add_u32 v47, v22, 1, 0
	;; [unrolled: 1-line block ×4, first 2 shown]
	v_add_nc_u32_e32 v17, v17, v28
	v_lshl_add_u32 v20, v0, 1, 0
	s_waitcnt vmcnt(0) lgkmcnt(0)
	s_barrier
	buffer_gl0_inv
                                        ; implicit-def: $vgpr39
	v_mul_f16_sdwa v19, v42, v35 dst_sel:DWORD dst_unused:UNUSED_PAD src0_sel:DWORD src1_sel:WORD_1
	v_mul_f16_sdwa v22, v43, v41 dst_sel:DWORD dst_unused:UNUSED_PAD src0_sel:DWORD src1_sel:WORD_1
	v_mul_f16_sdwa v23, v44, v35 dst_sel:DWORD dst_unused:UNUSED_PAD src0_sel:DWORD src1_sel:WORD_1
	v_mul_f16_sdwa v29, v45, v36 dst_sel:DWORD dst_unused:UNUSED_PAD src0_sel:DWORD src1_sel:WORD_1
	v_fmac_f16_e32 v19, v30, v35
	v_fmac_f16_e32 v22, v26, v41
	;; [unrolled: 1-line block ×4, first 2 shown]
	v_sub_f16_e32 v28, v37, v19
	v_sub_f16_e32 v27, v52, v22
	;; [unrolled: 1-line block ×4, first 2 shown]
	v_fma_f16 v19, v37, 2.0, -v28
	v_fma_f16 v33, v52, 2.0, -v27
	;; [unrolled: 1-line block ×4, first 2 shown]
	ds_write_b16 v48, v28 offset:64
	ds_write_b16 v48, v19
	ds_write_b16 v47, v33
	ds_write_b16 v47, v27 offset:64
	ds_write_b16 v46, v32
	ds_write_b16 v46, v23 offset:64
	;; [unrolled: 2-line block ×3, first 2 shown]
	s_waitcnt lgkmcnt(0)
	s_barrier
	buffer_gl0_inv
                                        ; implicit-def: $vgpr38
                                        ; implicit-def: $vgpr37
	s_and_saveexec_b32 s1, s0
	s_cbranch_execz .LBB0_15
; %bb.14:
	ds_read_u16 v19, v17
	ds_read_u16 v28, v20 offset:256
	ds_read_u16 v33, v20 offset:512
	;; [unrolled: 1-line block ×10, first 2 shown]
.LBB0_15:
	s_or_b32 exec_lo, exec_lo, s1
	v_mul_f16_sdwa v30, v30, v35 dst_sel:DWORD dst_unused:UNUSED_PAD src0_sel:DWORD src1_sel:WORD_1
	v_mul_f16_sdwa v26, v26, v41 dst_sel:DWORD dst_unused:UNUSED_PAD src0_sel:DWORD src1_sel:WORD_1
	;; [unrolled: 1-line block ×4, first 2 shown]
	s_waitcnt lgkmcnt(0)
	v_fma_f16 v30, v42, v35, -v30
	v_fma_f16 v26, v43, v41, -v26
	;; [unrolled: 1-line block ×4, first 2 shown]
	s_barrier
	v_sub_f16_e32 v45, v40, v30
	v_sub_f16_e32 v36, v34, v26
	;; [unrolled: 1-line block ×4, first 2 shown]
	buffer_gl0_inv
	v_fma_f16 v26, v40, 2.0, -v45
	v_fma_f16 v50, v34, 2.0, -v36
	;; [unrolled: 1-line block ×4, first 2 shown]
	ds_write_b16 v48, v45 offset:64
	ds_write_b16 v48, v26
	ds_write_b16 v47, v50
	ds_write_b16 v47, v36 offset:64
	ds_write_b16 v46, v49
	ds_write_b16 v46, v43 offset:64
	;; [unrolled: 2-line block ×3, first 2 shown]
	s_waitcnt lgkmcnt(0)
	s_barrier
	buffer_gl0_inv
                                        ; implicit-def: $vgpr51
                                        ; implicit-def: $vgpr52
                                        ; implicit-def: $vgpr53
	s_and_saveexec_b32 s1, s0
	s_cbranch_execz .LBB0_17
; %bb.16:
	ds_read_u16 v26, v17
	ds_read_u16 v45, v20 offset:256
	ds_read_u16 v50, v20 offset:512
	;; [unrolled: 1-line block ×10, first 2 shown]
.LBB0_17:
	s_or_b32 exec_lo, exec_lo, s1
	v_and_b32_e32 v18, 63, v0
	v_sub_nc_u32_e32 v21, 0, v9
	v_sub_nc_u32_e32 v15, 0, v15
	v_mul_u32_u24_e32 v20, 10, v18
	v_lshlrev_b32_e32 v20, 2, v20
	s_clause 0x2
	global_load_dwordx4 v[54:57], v20, s[8:9] offset:248
	global_load_dwordx4 v[58:61], v20, s[8:9] offset:264
	global_load_dwordx2 v[62:63], v20, s[8:9] offset:280
	v_sub_nc_u32_e32 v20, 0, v16
	s_waitcnt vmcnt(0) lgkmcnt(0)
	s_barrier
	buffer_gl0_inv
	v_mul_f16_sdwa v46, v45, v54 dst_sel:DWORD dst_unused:UNUSED_PAD src0_sel:DWORD src1_sel:WORD_1
	v_mul_f16_sdwa v9, v28, v54 dst_sel:DWORD dst_unused:UNUSED_PAD src0_sel:DWORD src1_sel:WORD_1
	;; [unrolled: 1-line block ×20, first 2 shown]
	v_fmac_f16_e32 v46, v28, v54
	v_fma_f16 v48, v45, v54, -v9
	v_fmac_f16_e32 v42, v33, v55
	v_fma_f16 v45, v50, v55, -v16
	;; [unrolled: 2-line block ×10, first 2 shown]
	v_lshrrev_b32_e32 v9, 6, v0
	s_and_saveexec_b32 s1, s0
	s_cbranch_execz .LBB0_19
; %bb.18:
	v_sub_f16_e32 v23, v48, v38
	v_add_f16_e32 v22, v46, v47
	v_sub_f16_e32 v39, v45, v40
	v_add_f16_e32 v27, v42, v44
	v_sub_f16_e32 v43, v36, v37
	v_mul_f16_e32 v53, 0xb482, v23
	v_add_f16_e32 v41, v34, v35
	v_mul_f16_e32 v54, 0x3853, v39
	v_sub_f16_e32 v50, v32, v33
	v_mul_f16_e32 v55, 0xba0c, v43
	v_fma_f16 v58, v22, 0xbbad, -v53
	v_add_f16_e32 v49, v30, v31
	v_fma_f16 v61, v27, 0x3abb, -v54
	v_sub_f16_e32 v52, v28, v29
	v_mul_f16_e32 v56, 0x3b47, v50
	v_add_f16_e32 v58, v19, v58
	v_fma_f16 v62, v41, 0xb93d, -v55
	v_fmac_f16_e32 v53, 0xbbad, v22
	v_add_f16_e32 v51, v24, v25
	v_mul_f16_e32 v57, 0xbbeb, v52
	v_add_f16_e32 v58, v61, v58
	v_mul_f16_e32 v59, 0xba0c, v23
	v_fma_f16 v63, v49, 0x36a6, -v56
	v_fmac_f16_e32 v54, 0x3abb, v27
	v_add_f16_e32 v53, v19, v53
	v_add_f16_e32 v58, v62, v58
	v_mul_f16_e32 v60, 0x3beb, v39
	v_fma_f16 v61, v51, 0xb08e, -v57
	v_fmac_f16_e32 v55, 0xb93d, v41
	v_fma_f16 v62, v22, 0xb93d, -v59
	v_add_f16_e32 v53, v54, v53
	v_add_f16_e32 v54, v63, v58
	v_fmac_f16_e32 v56, 0x36a6, v49
	v_fmac_f16_e32 v57, 0xb08e, v51
	v_add_f16_e32 v58, v19, v62
	v_add_f16_e32 v53, v55, v53
	;; [unrolled: 1-line block ×3, first 2 shown]
	v_fma_f16 v55, v27, 0xb08e, -v60
	v_mul_f16_e32 v61, 0xb853, v43
	v_fmac_f16_e32 v59, 0xb93d, v22
	v_add_f16_e32 v53, v56, v53
	v_fmac_f16_e32 v60, 0xb08e, v27
	v_add_f16_e32 v55, v55, v58
	v_fma_f16 v56, v41, 0x3abb, -v61
	v_mul_f16_e32 v58, 0xb482, v50
	v_add_f16_e32 v53, v57, v53
	v_add_f16_e32 v57, v19, v59
	v_mul_f16_e32 v59, 0xbbeb, v23
	v_add_f16_e32 v55, v56, v55
	v_fma_f16 v56, v49, 0xbbad, -v58
	v_fmac_f16_e32 v61, 0x3abb, v41
	v_add_f16_e32 v57, v60, v57
	v_mul_f16_e32 v60, 0x3482, v39
	v_add_f16_e32 v16, v19, v46
	v_add_f16_e32 v55, v56, v55
	v_fma_f16 v56, v22, 0xb08e, -v59
	v_mul_f16_e32 v62, 0x3b47, v52
	v_add_f16_e32 v57, v61, v57
	v_fmac_f16_e32 v58, 0xbbad, v49
	v_fma_f16 v61, v27, 0xbbad, -v60
	v_add_f16_e32 v56, v19, v56
	v_mul_f16_e32 v64, 0x3b47, v43
	v_add_f16_e32 v16, v16, v42
	v_fma_f16 v63, v51, 0x36a6, -v62
	v_add_f16_e32 v57, v58, v57
	v_fmac_f16_e32 v59, 0xb08e, v22
	v_add_f16_e32 v56, v61, v56
	v_fma_f16 v58, v41, 0x36a6, -v64
	v_mul_f16_e32 v61, 0xb853, v50
	v_add_f16_e32 v16, v16, v34
	v_add_f16_e32 v55, v63, v55
	;; [unrolled: 1-line block ×3, first 2 shown]
	v_fmac_f16_e32 v60, 0xbbad, v27
	v_add_f16_e32 v56, v58, v56
	v_fma_f16 v58, v49, 0x3abb, -v61
	v_mul_f16_e32 v63, 0xbb47, v23
	v_add_f16_e32 v16, v16, v30
	v_add_f16_e32 v59, v60, v59
	v_fmac_f16_e32 v64, 0x36a6, v41
	v_add_f16_e32 v56, v58, v56
	v_fma_f16 v58, v22, 0x36a6, -v63
	v_mul_f16_e32 v60, 0xba0c, v39
	v_fmac_f16_e32 v63, 0x36a6, v22
	v_mul_f16_e32 v23, 0xb853, v23
	v_add_f16_e32 v16, v16, v24
	v_add_f16_e32 v59, v64, v59
	v_fma_f16 v64, v27, 0xb93d, -v60
	v_add_f16_e32 v63, v19, v63
	v_fmac_f16_e32 v60, 0xb93d, v27
	v_mul_f16_e32 v39, 0xbb47, v39
	v_fma_f16 v67, v22, 0x3abb, -v23
	v_fmac_f16_e32 v23, 0x3abb, v22
	v_fmac_f16_e32 v62, 0x36a6, v51
	v_add_f16_e32 v16, v16, v25
	v_mul_f16_e32 v65, 0x3482, v43
	v_add_f16_e32 v22, v60, v63
	v_fma_f16 v60, v27, 0x36a6, -v39
	v_mul_f16_e32 v43, 0xbbeb, v43
	v_add_f16_e32 v23, v19, v23
	v_fmac_f16_e32 v39, 0x36a6, v27
	v_add_f16_e32 v58, v19, v58
	v_add_f16_e32 v57, v62, v57
	v_mul_f16_e32 v62, 0xba0c, v52
	v_fmac_f16_e32 v61, 0x3abb, v49
	v_add_f16_e32 v16, v16, v31
	v_add_f16_e32 v19, v19, v67
	v_fma_f16 v27, v41, 0xb08e, -v43
	v_add_f16_e32 v23, v39, v23
	v_fmac_f16_e32 v43, 0xb08e, v41
	v_add_f16_e32 v58, v64, v58
	v_mul_f16_e32 v64, 0x3beb, v50
	v_mul_f16_e32 v50, 0xba0c, v50
	v_fma_f16 v66, v51, 0xb93d, -v62
	v_add_f16_e32 v59, v61, v59
	v_fmac_f16_e32 v62, 0xb93d, v51
	v_fma_f16 v61, v41, 0xbbad, -v65
	v_fmac_f16_e32 v65, 0xbbad, v41
	v_add_f16_e32 v16, v16, v35
	v_add_f16_e32 v19, v60, v19
	;; [unrolled: 1-line block ×3, first 2 shown]
	v_mul_u32_u24_e32 v43, 0x2c0, v9
	v_fma_f16 v39, v49, 0xb93d, -v50
	v_mul_f16_e32 v41, 0xb482, v52
	v_fmac_f16_e32 v50, 0xb93d, v49
	v_add_f16_e32 v59, v62, v59
	v_add_f16_e32 v58, v61, v58
	v_mul_f16_e32 v61, 0x3853, v52
	v_fma_f16 v62, v49, 0xb08e, -v64
	v_add_f16_e32 v22, v65, v22
	v_fmac_f16_e32 v64, 0xb08e, v49
	v_add_f16_e32 v16, v16, v44
	v_add_f16_e32 v19, v27, v19
	v_or_b32_e32 v43, v43, v18
	v_fma_f16 v27, v51, 0xbbad, -v41
	v_add_f16_e32 v23, v50, v23
	v_fmac_f16_e32 v41, 0xbbad, v51
	v_add_f16_e32 v56, v66, v56
	v_fma_f16 v66, v51, 0x3abb, -v61
	v_add_f16_e32 v22, v64, v22
	v_fmac_f16_e32 v61, 0x3abb, v51
	v_add_f16_e32 v16, v16, v47
	v_add_f16_e32 v49, v62, v58
	;; [unrolled: 1-line block ×3, first 2 shown]
	v_lshl_add_u32 v39, v43, 1, 0
	v_add_f16_e32 v23, v41, v23
	v_add_f16_e32 v22, v61, v22
	;; [unrolled: 1-line block ×4, first 2 shown]
	ds_write_b16 v39, v16
	ds_write_b16 v39, v23 offset:128
	ds_write_b16 v39, v22 offset:256
	;; [unrolled: 1-line block ×10, first 2 shown]
.LBB0_19:
	s_or_b32 exec_lo, exec_lo, s1
	v_add_nc_u32_e32 v39, v5, v21
	v_add_nc_u32_e32 v41, v7, v15
	s_waitcnt lgkmcnt(0)
	s_barrier
	buffer_gl0_inv
	ds_read_u16 v15, v39
	ds_read_u16 v16, v41
	v_add_nc_u32_e32 v43, v1, v20
	ds_read_u16 v20, v17 offset:1408
	ds_read_u16 v21, v17 offset:1760
	;; [unrolled: 1-line block ×4, first 2 shown]
	ds_read_u16 v19, v17
	ds_read_u16 v22, v43
	s_waitcnt lgkmcnt(0)
	s_barrier
	buffer_gl0_inv
	s_and_saveexec_b32 s1, s0
	s_cbranch_execz .LBB0_21
; %bb.20:
	v_add_f16_e32 v1, v26, v48
	v_add_f16_e32 v5, v48, v38
	v_sub_f16_e32 v7, v46, v47
	v_add_f16_e32 v46, v45, v40
	v_sub_f16_e32 v42, v42, v44
	v_add_f16_e32 v1, v1, v45
	v_mul_f16_e32 v44, 0x3abb, v5
	v_mul_f16_e32 v45, 0x36a6, v5
	;; [unrolled: 1-line block ×4, first 2 shown]
	v_add_f16_e32 v1, v1, v36
	v_mul_f16_e32 v5, 0xbbad, v5
	v_mul_f16_e32 v49, 0x36a6, v46
	v_fmamk_f16 v52, v7, 0x3853, v44
	v_fmac_f16_e32 v44, 0xb853, v7
	v_add_f16_e32 v1, v1, v32
	v_mul_f16_e32 v50, 0xb93d, v46
	v_fmamk_f16 v53, v7, 0x3b47, v45
	v_fmac_f16_e32 v45, 0xbb47, v7
	v_fmamk_f16 v54, v7, 0x3beb, v47
	v_add_f16_e32 v1, v1, v28
	v_fmac_f16_e32 v47, 0xbbeb, v7
	v_fmamk_f16 v55, v7, 0x3a0c, v48
	v_fmac_f16_e32 v48, 0xba0c, v7
	v_fmamk_f16 v56, v7, 0x3482, v5
	v_add_f16_e32 v1, v1, v29
	v_fmac_f16_e32 v5, 0xb482, v7
	v_fmamk_f16 v7, v42, 0x3b47, v49
	v_fmac_f16_e32 v49, 0xbb47, v42
	v_add_f16_e32 v44, v26, v44
	v_add_f16_e32 v1, v1, v33
	v_mul_f16_e32 v51, 0xbbad, v46
	v_fmamk_f16 v57, v42, 0x3a0c, v50
	v_add_f16_e32 v52, v26, v52
	v_add_f16_e32 v53, v26, v53
	;; [unrolled: 1-line block ×11, first 2 shown]
	v_fmac_f16_e32 v50, 0xba0c, v42
	v_add_f16_e32 v26, v49, v44
	v_mul_f16_e32 v49, 0xb08e, v46
	v_mul_f16_e32 v46, 0x3abb, v46
	v_add_f16_e32 v36, v36, v37
	v_add_f16_e32 v45, v50, v45
	v_sub_f16_e32 v34, v34, v35
	v_fmamk_f16 v37, v42, 0xbbeb, v49
	v_fmac_f16_e32 v49, 0x3beb, v42
	v_fmamk_f16 v50, v42, 0xb853, v46
	v_mul_f16_e32 v35, 0xb08e, v36
	v_add_f16_e32 v7, v7, v52
	v_add_f16_e32 v1, v1, v38
	v_fmamk_f16 v38, v42, 0xb482, v51
	v_fmac_f16_e32 v51, 0x3482, v42
	v_fmac_f16_e32 v46, 0x3853, v42
	v_add_f16_e32 v40, v49, v40
	v_add_f16_e32 v42, v50, v48
	v_fmamk_f16 v48, v34, 0x3beb, v35
	v_mul_f16_e32 v49, 0xbbad, v36
	v_add_f16_e32 v44, v57, v53
	v_add_f16_e32 v5, v46, v5
	v_fmac_f16_e32 v35, 0xbbeb, v34
	v_mul_f16_e32 v46, 0x36a6, v36
	v_add_f16_e32 v7, v48, v7
	v_fmamk_f16 v48, v34, 0xb482, v49
	v_add_f16_e32 v38, v38, v54
	v_add_f16_e32 v47, v51, v47
	v_add_f16_e32 v26, v35, v26
	v_fmamk_f16 v35, v34, 0xbb47, v46
	v_fmac_f16_e32 v46, 0x3b47, v34
	v_add_f16_e32 v44, v48, v44
	v_mul_f16_e32 v48, 0x3abb, v36
	v_add_f16_e32 v32, v32, v33
	v_mul_f16_e32 v33, 0xb93d, v36
	v_add_f16_e32 v37, v37, v55
	v_add_f16_e32 v35, v35, v38
	;; [unrolled: 1-line block ×3, first 2 shown]
	v_fmamk_f16 v36, v34, 0x3853, v48
	v_fmac_f16_e32 v48, 0xb853, v34
	v_sub_f16_e32 v30, v30, v31
	v_mul_f16_e32 v31, 0xb93d, v32
	v_fmamk_f16 v46, v34, 0x3a0c, v33
	v_fmac_f16_e32 v49, 0x3482, v34
	v_add_f16_e32 v36, v36, v37
	v_add_f16_e32 v37, v48, v40
	v_fmac_f16_e32 v33, 0xba0c, v34
	v_fmamk_f16 v34, v30, 0x3a0c, v31
	v_add_f16_e32 v40, v46, v42
	v_mul_f16_e32 v42, 0xb08e, v32
	v_fmac_f16_e32 v31, 0xba0c, v30
	v_add_f16_e32 v5, v33, v5
	v_add_f16_e32 v7, v34, v7
	v_mul_f16_e32 v33, 0x3abb, v32
	v_fmamk_f16 v34, v30, 0xbbeb, v42
	v_add_f16_e32 v26, v31, v26
	v_mul_f16_e32 v31, 0xbbad, v32
	v_mul_f16_e32 v32, 0x36a6, v32
	v_add_f16_e32 v28, v28, v29
	v_add_f16_e32 v34, v34, v44
	v_fmac_f16_e32 v42, 0x3beb, v30
	v_fmamk_f16 v44, v30, 0x3482, v31
	v_fmac_f16_e32 v31, 0xb482, v30
	v_fmamk_f16 v46, v30, 0x3853, v33
	v_fmac_f16_e32 v33, 0xb853, v30
	v_fmamk_f16 v29, v30, 0xbb47, v32
	v_fmac_f16_e32 v32, 0x3b47, v30
	v_sub_f16_e32 v24, v24, v25
	v_mul_f16_e32 v25, 0xbbad, v28
	v_add_f16_e32 v30, v31, v37
	v_mul_f16_e32 v31, 0x3abb, v28
	v_add_f16_e32 v5, v32, v5
	v_add_f16_e32 v33, v33, v38
	v_fmamk_f16 v32, v24, 0x3482, v25
	v_fmac_f16_e32 v25, 0xb482, v24
	v_fmamk_f16 v37, v24, 0xb853, v31
	v_mul_f16_e32 v38, 0xb93d, v28
	v_mul_u32_u24_e32 v9, 0x2c0, v9
	v_add_f16_e32 v45, v49, v45
	v_add_f16_e32 v25, v25, v26
	;; [unrolled: 1-line block ×3, first 2 shown]
	v_mul_f16_e32 v34, 0x36a6, v28
	v_add_f16_e32 v35, v46, v35
	v_add_f16_e32 v7, v32, v7
	v_fmamk_f16 v32, v24, 0x3a0c, v38
	v_mul_f16_e32 v28, 0xb08e, v28
	v_or_b32_e32 v9, v9, v18
	v_add_f16_e32 v36, v44, v36
	v_fmamk_f16 v18, v24, 0xbb47, v34
	v_add_f16_e32 v42, v42, v45
	v_add_f16_e32 v29, v29, v40
	v_fmac_f16_e32 v31, 0x3853, v24
	v_fmac_f16_e32 v38, 0xba0c, v24
	v_add_f16_e32 v32, v32, v35
	v_fmac_f16_e32 v34, 0x3b47, v24
	v_fmamk_f16 v35, v24, 0x3beb, v28
	v_fmac_f16_e32 v28, 0xbbeb, v24
	v_lshl_add_u32 v9, v9, 1, 0
	v_add_f16_e32 v18, v18, v36
	v_add_f16_e32 v31, v31, v42
	;; [unrolled: 1-line block ×6, first 2 shown]
	ds_write_b16 v9, v1
	ds_write_b16 v9, v7 offset:128
	ds_write_b16 v9, v26 offset:256
	;; [unrolled: 1-line block ×10, first 2 shown]
.LBB0_21:
	s_or_b32 exec_lo, exec_lo, s1
	s_waitcnt lgkmcnt(0)
	s_barrier
	buffer_gl0_inv
	s_and_saveexec_b32 s0, vcc_lo
	s_cbranch_execz .LBB0_23
; %bb.22:
	v_mov_b32_e32 v9, 0
	v_lshlrev_b64 v[24:25], 2, v[8:9]
	v_mov_b32_e32 v7, v9
	v_mov_b32_e32 v5, v9
	;; [unrolled: 1-line block ×3, first 2 shown]
	v_lshlrev_b64 v[6:7], 2, v[6:7]
	v_add_co_u32 v8, vcc_lo, s8, v24
	v_add_co_ci_u32_e32 v9, vcc_lo, s9, v25, vcc_lo
	v_lshlrev_b64 v[4:5], 2, v[4:5]
	v_add_co_u32 v8, vcc_lo, 0x800, v8
	v_add_co_ci_u32_e32 v9, vcc_lo, 0, v9, vcc_lo
	v_add_co_u32 v6, vcc_lo, s8, v6
	v_add_co_ci_u32_e32 v7, vcc_lo, s9, v7, vcc_lo
	global_load_dword v31, v[8:9], off offset:760
	v_add_co_u32 v6, vcc_lo, 0x800, v6
	v_lshlrev_b64 v[8:9], 2, v[0:1]
	v_add_co_ci_u32_e32 v7, vcc_lo, 0, v7, vcc_lo
	v_add_co_u32 v1, vcc_lo, s8, v4
	v_add_co_ci_u32_e32 v5, vcc_lo, s9, v5, vcc_lo
	v_add_co_u32 v8, vcc_lo, s8, v8
	;; [unrolled: 2-line block ×4, first 2 shown]
	v_add_co_ci_u32_e32 v9, vcc_lo, 0, v9, vcc_lo
	s_clause 0x2
	global_load_dword v32, v[6:7], off offset:760
	global_load_dword v33, v[4:5], off offset:760
	;; [unrolled: 1-line block ×3, first 2 shown]
	v_mad_u64_u32 v[6:7], null, s2, v14, 0
	v_mul_hi_u32 v24, 0xba2e8ba3, v11
	v_mad_u64_u32 v[8:9], null, s2, v10, 0
	v_mul_hi_u32 v25, 0xba2e8ba3, v12
	v_mad_u64_u32 v[4:5], null, s2, v0, 0
	ds_read_u16 v35, v43
	ds_read_u16 v36, v41
	;; [unrolled: 1-line block ×3, first 2 shown]
	ds_read_u16 v38, v17 offset:2464
	ds_read_u16 v39, v17 offset:2112
	;; [unrolled: 1-line block ×4, first 2 shown]
	ds_read_u16 v42, v17
	v_mad_u64_u32 v[17:18], null, s2, v13, 0
	v_add_co_u32 v43, vcc_lo, s12, v2
	v_mov_b32_e32 v2, v7
	v_lshrrev_b32_e32 v7, 9, v24
	v_add_co_ci_u32_e32 v44, vcc_lo, s13, v3, vcc_lo
	v_mov_b32_e32 v3, v9
	v_lshrrev_b32_e32 v9, 9, v25
	v_mov_b32_e32 v1, v5
	v_mov_b32_e32 v5, v18
	v_mad_u32_u24 v24, 0x2c0, v7, v11
	v_mad_u32_u24 v26, 0x2c0, v9, v12
	v_mad_u64_u32 v[0:1], null, s3, v0, v[1:2]
	v_mad_u64_u32 v[1:2], null, s3, v14, v[2:3]
	;; [unrolled: 1-line block ×6, first 2 shown]
	v_mov_b32_e32 v5, v0
	v_add_nc_u32_e32 v28, 0x2c0, v24
	v_add_nc_u32_e32 v30, 0x2c0, v26
	v_mov_b32_e32 v18, v10
	v_mov_b32_e32 v10, v12
	v_lshlrev_b64 v[4:5], 2, v[4:5]
	v_mov_b32_e32 v12, v14
	v_mov_b32_e32 v7, v1
	;; [unrolled: 1-line block ×3, first 2 shown]
	v_mad_u64_u32 v[0:1], null, s2, v28, 0
	v_mad_u64_u32 v[2:3], null, s2, v30, 0
	;; [unrolled: 1-line block ×4, first 2 shown]
	v_add_co_u32 v4, vcc_lo, v43, v4
	v_mad_u64_u32 v[28:29], null, s3, v28, v[1:2]
	v_mov_b32_e32 v12, v24
	v_mad_u64_u32 v[29:30], null, s3, v30, v[3:4]
	v_mov_b32_e32 v14, v25
	v_lshlrev_b64 v[6:7], 2, v[6:7]
	v_lshlrev_b64 v[10:11], 2, v[11:12]
	;; [unrolled: 1-line block ×3, first 2 shown]
	v_mov_b32_e32 v1, v28
	v_lshlrev_b64 v[12:13], 2, v[13:14]
	v_mov_b32_e32 v3, v29
	v_add_co_ci_u32_e32 v5, vcc_lo, v44, v5, vcc_lo
	v_lshlrev_b64 v[17:18], 2, v[17:18]
	v_add_co_u32 v6, vcc_lo, v43, v6
	v_add_co_ci_u32_e32 v7, vcc_lo, v44, v7, vcc_lo
	v_add_co_u32 v8, vcc_lo, v43, v8
	v_add_co_ci_u32_e32 v9, vcc_lo, v44, v9, vcc_lo
	;; [unrolled: 2-line block ×3, first 2 shown]
	v_lshlrev_b64 v[0:1], 2, v[0:1]
	v_add_co_u32 v10, vcc_lo, v43, v10
	v_add_co_ci_u32_e32 v11, vcc_lo, v44, v11, vcc_lo
	v_lshlrev_b64 v[2:3], 2, v[2:3]
	v_add_co_u32 v12, vcc_lo, v43, v12
	v_add_co_ci_u32_e32 v13, vcc_lo, v44, v13, vcc_lo
	v_add_co_u32 v0, vcc_lo, v43, v0
	v_add_co_ci_u32_e32 v1, vcc_lo, v44, v1, vcc_lo
	;; [unrolled: 2-line block ×3, first 2 shown]
	s_waitcnt vmcnt(3)
	v_lshrrev_b32_e32 v14, 16, v31
	v_mul_f16_e32 v24, v27, v31
	s_waitcnt lgkmcnt(4)
	v_fmac_f16_e32 v24, v38, v14
	v_mul_f16_e32 v14, v27, v14
	v_sub_f16_e32 v24, v22, v24
	v_fma_f16 v14, v38, v31, -v14
	v_fma_f16 v22, v22, 2.0, -v24
	v_sub_f16_e32 v14, v35, v14
	s_waitcnt vmcnt(2)
	v_lshrrev_b32_e32 v25, 16, v32
	s_waitcnt vmcnt(1)
	v_lshrrev_b32_e32 v27, 16, v33
	;; [unrolled: 2-line block ×3, first 2 shown]
	v_mul_f16_e32 v30, v20, v34
	v_mul_f16_e32 v26, v23, v32
	;; [unrolled: 1-line block ×6, first 2 shown]
	s_waitcnt lgkmcnt(1)
	v_fmac_f16_e32 v30, v41, v29
	v_fmac_f16_e32 v26, v39, v25
	;; [unrolled: 1-line block ×3, first 2 shown]
	v_fma_f16 v20, v41, v34, -v20
	v_fma_f16 v21, v40, v33, -v21
	;; [unrolled: 1-line block ×3, first 2 shown]
	v_sub_f16_e32 v27, v19, v30
	v_sub_f16_e32 v25, v16, v26
	s_waitcnt lgkmcnt(0)
	v_sub_f16_e32 v20, v42, v20
	v_sub_f16_e32 v26, v15, v28
	;; [unrolled: 1-line block ×4, first 2 shown]
	v_fma_f16 v28, v35, 2.0, -v14
	v_fma_f16 v19, v19, 2.0, -v27
	v_pack_b32_f16 v14, v24, v14
	v_fma_f16 v24, v42, 2.0, -v20
	v_fma_f16 v15, v15, 2.0, -v26
	v_fma_f16 v30, v37, 2.0, -v21
	v_fma_f16 v16, v16, 2.0, -v25
	v_fma_f16 v29, v36, 2.0, -v23
	v_pack_b32_f16 v19, v19, v24
	v_pack_b32_f16 v20, v27, v20
	;; [unrolled: 1-line block ×7, first 2 shown]
	global_store_dword v[4:5], v19, off
	global_store_dword v[6:7], v20, off
	;; [unrolled: 1-line block ×8, first 2 shown]
.LBB0_23:
	s_endpgm
	.section	.rodata,"a",@progbits
	.p2align	6, 0x0
	.amdhsa_kernel fft_rtc_back_len1408_factors_2_2_2_2_2_2_11_2_wgs_176_tpt_176_halfLds_half_ip_CI_sbrr_dirReg
		.amdhsa_group_segment_fixed_size 0
		.amdhsa_private_segment_fixed_size 0
		.amdhsa_kernarg_size 88
		.amdhsa_user_sgpr_count 6
		.amdhsa_user_sgpr_private_segment_buffer 1
		.amdhsa_user_sgpr_dispatch_ptr 0
		.amdhsa_user_sgpr_queue_ptr 0
		.amdhsa_user_sgpr_kernarg_segment_ptr 1
		.amdhsa_user_sgpr_dispatch_id 0
		.amdhsa_user_sgpr_flat_scratch_init 0
		.amdhsa_user_sgpr_private_segment_size 0
		.amdhsa_wavefront_size32 1
		.amdhsa_uses_dynamic_stack 0
		.amdhsa_system_sgpr_private_segment_wavefront_offset 0
		.amdhsa_system_sgpr_workgroup_id_x 1
		.amdhsa_system_sgpr_workgroup_id_y 0
		.amdhsa_system_sgpr_workgroup_id_z 0
		.amdhsa_system_sgpr_workgroup_info 0
		.amdhsa_system_vgpr_workitem_id 0
		.amdhsa_next_free_vgpr 72
		.amdhsa_next_free_sgpr 23
		.amdhsa_reserve_vcc 1
		.amdhsa_reserve_flat_scratch 0
		.amdhsa_float_round_mode_32 0
		.amdhsa_float_round_mode_16_64 0
		.amdhsa_float_denorm_mode_32 3
		.amdhsa_float_denorm_mode_16_64 3
		.amdhsa_dx10_clamp 1
		.amdhsa_ieee_mode 1
		.amdhsa_fp16_overflow 0
		.amdhsa_workgroup_processor_mode 1
		.amdhsa_memory_ordered 1
		.amdhsa_forward_progress 0
		.amdhsa_shared_vgpr_count 0
		.amdhsa_exception_fp_ieee_invalid_op 0
		.amdhsa_exception_fp_denorm_src 0
		.amdhsa_exception_fp_ieee_div_zero 0
		.amdhsa_exception_fp_ieee_overflow 0
		.amdhsa_exception_fp_ieee_underflow 0
		.amdhsa_exception_fp_ieee_inexact 0
		.amdhsa_exception_int_div_zero 0
	.end_amdhsa_kernel
	.text
.Lfunc_end0:
	.size	fft_rtc_back_len1408_factors_2_2_2_2_2_2_11_2_wgs_176_tpt_176_halfLds_half_ip_CI_sbrr_dirReg, .Lfunc_end0-fft_rtc_back_len1408_factors_2_2_2_2_2_2_11_2_wgs_176_tpt_176_halfLds_half_ip_CI_sbrr_dirReg
                                        ; -- End function
	.section	.AMDGPU.csdata,"",@progbits
; Kernel info:
; codeLenInByte = 9168
; NumSgprs: 25
; NumVgprs: 72
; ScratchSize: 0
; MemoryBound: 0
; FloatMode: 240
; IeeeMode: 1
; LDSByteSize: 0 bytes/workgroup (compile time only)
; SGPRBlocks: 3
; VGPRBlocks: 8
; NumSGPRsForWavesPerEU: 25
; NumVGPRsForWavesPerEU: 72
; Occupancy: 12
; WaveLimiterHint : 1
; COMPUTE_PGM_RSRC2:SCRATCH_EN: 0
; COMPUTE_PGM_RSRC2:USER_SGPR: 6
; COMPUTE_PGM_RSRC2:TRAP_HANDLER: 0
; COMPUTE_PGM_RSRC2:TGID_X_EN: 1
; COMPUTE_PGM_RSRC2:TGID_Y_EN: 0
; COMPUTE_PGM_RSRC2:TGID_Z_EN: 0
; COMPUTE_PGM_RSRC2:TIDIG_COMP_CNT: 0
	.text
	.p2alignl 6, 3214868480
	.fill 48, 4, 3214868480
	.type	__hip_cuid_cbf39bf614ac585,@object ; @__hip_cuid_cbf39bf614ac585
	.section	.bss,"aw",@nobits
	.globl	__hip_cuid_cbf39bf614ac585
__hip_cuid_cbf39bf614ac585:
	.byte	0                               ; 0x0
	.size	__hip_cuid_cbf39bf614ac585, 1

	.ident	"AMD clang version 19.0.0git (https://github.com/RadeonOpenCompute/llvm-project roc-6.4.0 25133 c7fe45cf4b819c5991fe208aaa96edf142730f1d)"
	.section	".note.GNU-stack","",@progbits
	.addrsig
	.addrsig_sym __hip_cuid_cbf39bf614ac585
	.amdgpu_metadata
---
amdhsa.kernels:
  - .args:
      - .actual_access:  read_only
        .address_space:  global
        .offset:         0
        .size:           8
        .value_kind:     global_buffer
      - .offset:         8
        .size:           8
        .value_kind:     by_value
      - .actual_access:  read_only
        .address_space:  global
        .offset:         16
        .size:           8
        .value_kind:     global_buffer
      - .actual_access:  read_only
        .address_space:  global
        .offset:         24
        .size:           8
        .value_kind:     global_buffer
      - .offset:         32
        .size:           8
        .value_kind:     by_value
      - .actual_access:  read_only
        .address_space:  global
        .offset:         40
        .size:           8
        .value_kind:     global_buffer
      - .actual_access:  read_only
        .address_space:  global
        .offset:         48
        .size:           8
        .value_kind:     global_buffer
      - .offset:         56
        .size:           4
        .value_kind:     by_value
      - .actual_access:  read_only
        .address_space:  global
        .offset:         64
        .size:           8
        .value_kind:     global_buffer
      - .actual_access:  read_only
        .address_space:  global
        .offset:         72
        .size:           8
        .value_kind:     global_buffer
      - .address_space:  global
        .offset:         80
        .size:           8
        .value_kind:     global_buffer
    .group_segment_fixed_size: 0
    .kernarg_segment_align: 8
    .kernarg_segment_size: 88
    .language:       OpenCL C
    .language_version:
      - 2
      - 0
    .max_flat_workgroup_size: 176
    .name:           fft_rtc_back_len1408_factors_2_2_2_2_2_2_11_2_wgs_176_tpt_176_halfLds_half_ip_CI_sbrr_dirReg
    .private_segment_fixed_size: 0
    .sgpr_count:     25
    .sgpr_spill_count: 0
    .symbol:         fft_rtc_back_len1408_factors_2_2_2_2_2_2_11_2_wgs_176_tpt_176_halfLds_half_ip_CI_sbrr_dirReg.kd
    .uniform_work_group_size: 1
    .uses_dynamic_stack: false
    .vgpr_count:     72
    .vgpr_spill_count: 0
    .wavefront_size: 32
    .workgroup_processor_mode: 1
amdhsa.target:   amdgcn-amd-amdhsa--gfx1030
amdhsa.version:
  - 1
  - 2
...

	.end_amdgpu_metadata
